;; amdgpu-corpus repo=ROCm/rocFFT kind=compiled arch=gfx1100 opt=O3
	.text
	.amdgcn_target "amdgcn-amd-amdhsa--gfx1100"
	.amdhsa_code_object_version 6
	.protected	fft_rtc_fwd_len130_factors_13_10_wgs_52_tpt_13_sp_ip_CI_unitstride_sbrr_C2R_dirReg ; -- Begin function fft_rtc_fwd_len130_factors_13_10_wgs_52_tpt_13_sp_ip_CI_unitstride_sbrr_C2R_dirReg
	.globl	fft_rtc_fwd_len130_factors_13_10_wgs_52_tpt_13_sp_ip_CI_unitstride_sbrr_C2R_dirReg
	.p2align	8
	.type	fft_rtc_fwd_len130_factors_13_10_wgs_52_tpt_13_sp_ip_CI_unitstride_sbrr_C2R_dirReg,@function
fft_rtc_fwd_len130_factors_13_10_wgs_52_tpt_13_sp_ip_CI_unitstride_sbrr_C2R_dirReg: ; @fft_rtc_fwd_len130_factors_13_10_wgs_52_tpt_13_sp_ip_CI_unitstride_sbrr_C2R_dirReg
; %bb.0:
	s_clause 0x2
	s_load_b128 s[4:7], s[0:1], 0x0
	s_load_b64 s[8:9], s[0:1], 0x50
	s_load_b64 s[10:11], s[0:1], 0x18
	v_mul_u32_u24_e32 v1, 0x13b2, v0
	v_mov_b32_e32 v3, 0
	v_mov_b32_e32 v4, 0
	s_delay_alu instid0(VALU_DEP_3) | instskip(SKIP_1) | instid1(VALU_DEP_2)
	v_lshrrev_b32_e32 v9, 16, v1
	v_mov_b32_e32 v1, 0
	v_lshl_add_u32 v5, s15, 2, v9
	s_delay_alu instid0(VALU_DEP_2) | instskip(SKIP_2) | instid1(VALU_DEP_1)
	v_mov_b32_e32 v6, v1
	s_waitcnt lgkmcnt(0)
	v_cmp_lt_u64_e64 s2, s[6:7], 2
	s_and_b32 vcc_lo, exec_lo, s2
	s_cbranch_vccnz .LBB0_8
; %bb.1:
	s_load_b64 s[2:3], s[0:1], 0x10
	v_mov_b32_e32 v3, 0
	s_add_u32 s12, s10, 8
	v_mov_b32_e32 v4, 0
	s_addc_u32 s13, s11, 0
	s_mov_b64 s[16:17], 1
	s_waitcnt lgkmcnt(0)
	s_add_u32 s14, s2, 8
	s_addc_u32 s15, s3, 0
.LBB0_2:                                ; =>This Inner Loop Header: Depth=1
	s_load_b64 s[18:19], s[14:15], 0x0
                                        ; implicit-def: $vgpr7_vgpr8
	s_mov_b32 s2, exec_lo
	s_waitcnt lgkmcnt(0)
	v_or_b32_e32 v2, s19, v6
	s_delay_alu instid0(VALU_DEP_1)
	v_cmpx_ne_u64_e32 0, v[1:2]
	s_xor_b32 s3, exec_lo, s2
	s_cbranch_execz .LBB0_4
; %bb.3:                                ;   in Loop: Header=BB0_2 Depth=1
	v_cvt_f32_u32_e32 v2, s18
	v_cvt_f32_u32_e32 v7, s19
	s_sub_u32 s2, 0, s18
	s_subb_u32 s20, 0, s19
	s_delay_alu instid0(VALU_DEP_1) | instskip(NEXT) | instid1(VALU_DEP_1)
	v_fmac_f32_e32 v2, 0x4f800000, v7
	v_rcp_f32_e32 v2, v2
	s_waitcnt_depctr 0xfff
	v_mul_f32_e32 v2, 0x5f7ffffc, v2
	s_delay_alu instid0(VALU_DEP_1) | instskip(NEXT) | instid1(VALU_DEP_1)
	v_mul_f32_e32 v7, 0x2f800000, v2
	v_trunc_f32_e32 v7, v7
	s_delay_alu instid0(VALU_DEP_1) | instskip(SKIP_1) | instid1(VALU_DEP_2)
	v_fmac_f32_e32 v2, 0xcf800000, v7
	v_cvt_u32_f32_e32 v7, v7
	v_cvt_u32_f32_e32 v2, v2
	s_delay_alu instid0(VALU_DEP_2) | instskip(NEXT) | instid1(VALU_DEP_2)
	v_mul_lo_u32 v8, s2, v7
	v_mul_hi_u32 v10, s2, v2
	v_mul_lo_u32 v11, s20, v2
	s_delay_alu instid0(VALU_DEP_2) | instskip(SKIP_1) | instid1(VALU_DEP_2)
	v_add_nc_u32_e32 v8, v10, v8
	v_mul_lo_u32 v10, s2, v2
	v_add_nc_u32_e32 v8, v8, v11
	s_delay_alu instid0(VALU_DEP_2) | instskip(NEXT) | instid1(VALU_DEP_2)
	v_mul_hi_u32 v11, v2, v10
	v_mul_lo_u32 v12, v2, v8
	v_mul_hi_u32 v13, v2, v8
	v_mul_hi_u32 v14, v7, v10
	v_mul_lo_u32 v10, v7, v10
	v_mul_hi_u32 v15, v7, v8
	v_mul_lo_u32 v8, v7, v8
	v_add_co_u32 v11, vcc_lo, v11, v12
	v_add_co_ci_u32_e32 v12, vcc_lo, 0, v13, vcc_lo
	s_delay_alu instid0(VALU_DEP_2) | instskip(NEXT) | instid1(VALU_DEP_2)
	v_add_co_u32 v10, vcc_lo, v11, v10
	v_add_co_ci_u32_e32 v10, vcc_lo, v12, v14, vcc_lo
	v_add_co_ci_u32_e32 v11, vcc_lo, 0, v15, vcc_lo
	s_delay_alu instid0(VALU_DEP_2) | instskip(NEXT) | instid1(VALU_DEP_2)
	v_add_co_u32 v8, vcc_lo, v10, v8
	v_add_co_ci_u32_e32 v10, vcc_lo, 0, v11, vcc_lo
	s_delay_alu instid0(VALU_DEP_2) | instskip(NEXT) | instid1(VALU_DEP_2)
	v_add_co_u32 v2, vcc_lo, v2, v8
	v_add_co_ci_u32_e32 v7, vcc_lo, v7, v10, vcc_lo
	s_delay_alu instid0(VALU_DEP_2) | instskip(SKIP_1) | instid1(VALU_DEP_3)
	v_mul_hi_u32 v8, s2, v2
	v_mul_lo_u32 v11, s20, v2
	v_mul_lo_u32 v10, s2, v7
	s_delay_alu instid0(VALU_DEP_1) | instskip(SKIP_1) | instid1(VALU_DEP_2)
	v_add_nc_u32_e32 v8, v8, v10
	v_mul_lo_u32 v10, s2, v2
	v_add_nc_u32_e32 v8, v8, v11
	s_delay_alu instid0(VALU_DEP_2) | instskip(NEXT) | instid1(VALU_DEP_2)
	v_mul_hi_u32 v11, v2, v10
	v_mul_lo_u32 v12, v2, v8
	v_mul_hi_u32 v13, v2, v8
	v_mul_hi_u32 v14, v7, v10
	v_mul_lo_u32 v10, v7, v10
	v_mul_hi_u32 v15, v7, v8
	v_mul_lo_u32 v8, v7, v8
	v_add_co_u32 v11, vcc_lo, v11, v12
	v_add_co_ci_u32_e32 v12, vcc_lo, 0, v13, vcc_lo
	s_delay_alu instid0(VALU_DEP_2) | instskip(NEXT) | instid1(VALU_DEP_2)
	v_add_co_u32 v10, vcc_lo, v11, v10
	v_add_co_ci_u32_e32 v10, vcc_lo, v12, v14, vcc_lo
	v_add_co_ci_u32_e32 v11, vcc_lo, 0, v15, vcc_lo
	s_delay_alu instid0(VALU_DEP_2) | instskip(NEXT) | instid1(VALU_DEP_2)
	v_add_co_u32 v8, vcc_lo, v10, v8
	v_add_co_ci_u32_e32 v10, vcc_lo, 0, v11, vcc_lo
	s_delay_alu instid0(VALU_DEP_2) | instskip(NEXT) | instid1(VALU_DEP_2)
	v_add_co_u32 v2, vcc_lo, v2, v8
	v_add_co_ci_u32_e32 v14, vcc_lo, v7, v10, vcc_lo
	s_delay_alu instid0(VALU_DEP_2) | instskip(SKIP_1) | instid1(VALU_DEP_3)
	v_mul_hi_u32 v15, v5, v2
	v_mad_u64_u32 v[10:11], null, v6, v2, 0
	v_mad_u64_u32 v[7:8], null, v5, v14, 0
	;; [unrolled: 1-line block ×3, first 2 shown]
	s_delay_alu instid0(VALU_DEP_2) | instskip(NEXT) | instid1(VALU_DEP_3)
	v_add_co_u32 v2, vcc_lo, v15, v7
	v_add_co_ci_u32_e32 v7, vcc_lo, 0, v8, vcc_lo
	s_delay_alu instid0(VALU_DEP_2) | instskip(NEXT) | instid1(VALU_DEP_2)
	v_add_co_u32 v2, vcc_lo, v2, v10
	v_add_co_ci_u32_e32 v2, vcc_lo, v7, v11, vcc_lo
	v_add_co_ci_u32_e32 v7, vcc_lo, 0, v13, vcc_lo
	s_delay_alu instid0(VALU_DEP_2) | instskip(NEXT) | instid1(VALU_DEP_2)
	v_add_co_u32 v2, vcc_lo, v2, v12
	v_add_co_ci_u32_e32 v10, vcc_lo, 0, v7, vcc_lo
	s_delay_alu instid0(VALU_DEP_2) | instskip(SKIP_1) | instid1(VALU_DEP_3)
	v_mul_lo_u32 v11, s19, v2
	v_mad_u64_u32 v[7:8], null, s18, v2, 0
	v_mul_lo_u32 v12, s18, v10
	s_delay_alu instid0(VALU_DEP_2) | instskip(NEXT) | instid1(VALU_DEP_2)
	v_sub_co_u32 v7, vcc_lo, v5, v7
	v_add3_u32 v8, v8, v12, v11
	s_delay_alu instid0(VALU_DEP_1) | instskip(NEXT) | instid1(VALU_DEP_1)
	v_sub_nc_u32_e32 v11, v6, v8
	v_subrev_co_ci_u32_e64 v11, s2, s19, v11, vcc_lo
	v_add_co_u32 v12, s2, v2, 2
	s_delay_alu instid0(VALU_DEP_1) | instskip(SKIP_3) | instid1(VALU_DEP_3)
	v_add_co_ci_u32_e64 v13, s2, 0, v10, s2
	v_sub_co_u32 v14, s2, v7, s18
	v_sub_co_ci_u32_e32 v8, vcc_lo, v6, v8, vcc_lo
	v_subrev_co_ci_u32_e64 v11, s2, 0, v11, s2
	v_cmp_le_u32_e32 vcc_lo, s18, v14
	s_delay_alu instid0(VALU_DEP_3) | instskip(SKIP_1) | instid1(VALU_DEP_4)
	v_cmp_eq_u32_e64 s2, s19, v8
	v_cndmask_b32_e64 v14, 0, -1, vcc_lo
	v_cmp_le_u32_e32 vcc_lo, s19, v11
	v_cndmask_b32_e64 v15, 0, -1, vcc_lo
	v_cmp_le_u32_e32 vcc_lo, s18, v7
	;; [unrolled: 2-line block ×3, first 2 shown]
	v_cndmask_b32_e64 v16, 0, -1, vcc_lo
	v_cmp_eq_u32_e32 vcc_lo, s19, v11
	s_delay_alu instid0(VALU_DEP_2) | instskip(SKIP_3) | instid1(VALU_DEP_3)
	v_cndmask_b32_e64 v7, v16, v7, s2
	v_cndmask_b32_e32 v11, v15, v14, vcc_lo
	v_add_co_u32 v14, vcc_lo, v2, 1
	v_add_co_ci_u32_e32 v15, vcc_lo, 0, v10, vcc_lo
	v_cmp_ne_u32_e32 vcc_lo, 0, v11
	s_delay_alu instid0(VALU_DEP_2) | instskip(SKIP_1) | instid1(VALU_DEP_2)
	v_dual_cndmask_b32 v8, v15, v13 :: v_dual_cndmask_b32 v11, v14, v12
	v_cmp_ne_u32_e32 vcc_lo, 0, v7
	v_cndmask_b32_e32 v7, v2, v11, vcc_lo
	s_delay_alu instid0(VALU_DEP_3)
	v_cndmask_b32_e32 v8, v10, v8, vcc_lo
.LBB0_4:                                ;   in Loop: Header=BB0_2 Depth=1
	s_and_not1_saveexec_b32 s2, s3
	s_cbranch_execz .LBB0_6
; %bb.5:                                ;   in Loop: Header=BB0_2 Depth=1
	v_cvt_f32_u32_e32 v2, s18
	s_sub_i32 s3, 0, s18
	s_delay_alu instid0(VALU_DEP_1) | instskip(SKIP_2) | instid1(VALU_DEP_1)
	v_rcp_iflag_f32_e32 v2, v2
	s_waitcnt_depctr 0xfff
	v_mul_f32_e32 v2, 0x4f7ffffe, v2
	v_cvt_u32_f32_e32 v2, v2
	s_delay_alu instid0(VALU_DEP_1) | instskip(NEXT) | instid1(VALU_DEP_1)
	v_mul_lo_u32 v7, s3, v2
	v_mul_hi_u32 v7, v2, v7
	s_delay_alu instid0(VALU_DEP_1) | instskip(NEXT) | instid1(VALU_DEP_1)
	v_add_nc_u32_e32 v2, v2, v7
	v_mul_hi_u32 v2, v5, v2
	s_delay_alu instid0(VALU_DEP_1) | instskip(SKIP_1) | instid1(VALU_DEP_2)
	v_mul_lo_u32 v7, v2, s18
	v_add_nc_u32_e32 v8, 1, v2
	v_sub_nc_u32_e32 v7, v5, v7
	s_delay_alu instid0(VALU_DEP_1) | instskip(SKIP_1) | instid1(VALU_DEP_2)
	v_subrev_nc_u32_e32 v10, s18, v7
	v_cmp_le_u32_e32 vcc_lo, s18, v7
	v_dual_cndmask_b32 v7, v7, v10 :: v_dual_cndmask_b32 v2, v2, v8
	s_delay_alu instid0(VALU_DEP_1) | instskip(NEXT) | instid1(VALU_DEP_2)
	v_cmp_le_u32_e32 vcc_lo, s18, v7
	v_add_nc_u32_e32 v8, 1, v2
	s_delay_alu instid0(VALU_DEP_1)
	v_dual_cndmask_b32 v7, v2, v8 :: v_dual_mov_b32 v8, v1
.LBB0_6:                                ;   in Loop: Header=BB0_2 Depth=1
	s_or_b32 exec_lo, exec_lo, s2
	s_load_b64 s[2:3], s[12:13], 0x0
	s_delay_alu instid0(VALU_DEP_1) | instskip(NEXT) | instid1(VALU_DEP_2)
	v_mul_lo_u32 v2, v8, s18
	v_mul_lo_u32 v12, v7, s19
	v_mad_u64_u32 v[10:11], null, v7, s18, 0
	s_add_u32 s16, s16, 1
	s_addc_u32 s17, s17, 0
	s_add_u32 s12, s12, 8
	s_addc_u32 s13, s13, 0
	;; [unrolled: 2-line block ×3, first 2 shown]
	s_delay_alu instid0(VALU_DEP_1) | instskip(SKIP_1) | instid1(VALU_DEP_2)
	v_add3_u32 v2, v11, v12, v2
	v_sub_co_u32 v10, vcc_lo, v5, v10
	v_sub_co_ci_u32_e32 v2, vcc_lo, v6, v2, vcc_lo
	s_waitcnt lgkmcnt(0)
	s_delay_alu instid0(VALU_DEP_2) | instskip(NEXT) | instid1(VALU_DEP_2)
	v_mul_lo_u32 v11, s3, v10
	v_mul_lo_u32 v2, s2, v2
	v_mad_u64_u32 v[5:6], null, s2, v10, v[3:4]
	v_cmp_ge_u64_e64 s2, s[16:17], s[6:7]
	s_delay_alu instid0(VALU_DEP_1) | instskip(NEXT) | instid1(VALU_DEP_2)
	s_and_b32 vcc_lo, exec_lo, s2
	v_add3_u32 v4, v11, v6, v2
	s_delay_alu instid0(VALU_DEP_3)
	v_mov_b32_e32 v3, v5
	s_cbranch_vccnz .LBB0_9
; %bb.7:                                ;   in Loop: Header=BB0_2 Depth=1
	v_dual_mov_b32 v5, v7 :: v_dual_mov_b32 v6, v8
	s_branch .LBB0_2
.LBB0_8:
	v_dual_mov_b32 v8, v6 :: v_dual_mov_b32 v7, v5
.LBB0_9:
	s_lshl_b64 s[2:3], s[6:7], 3
	v_mul_hi_u32 v1, 0x13b13b14, v0
	s_add_u32 s2, s10, s2
	s_addc_u32 s3, s11, s3
	s_load_b64 s[2:3], s[2:3], 0x0
	s_load_b64 s[0:1], s[0:1], 0x20
	s_delay_alu instid0(VALU_DEP_1) | instskip(NEXT) | instid1(VALU_DEP_1)
	v_mul_u32_u24_e32 v1, 13, v1
	v_sub_nc_u32_e32 v24, v0, v1
	s_waitcnt lgkmcnt(0)
	v_mul_lo_u32 v2, s2, v8
	v_mul_lo_u32 v10, s3, v7
	v_mad_u64_u32 v[5:6], null, s2, v7, v[3:4]
	v_and_b32_e32 v3, 3, v9
	v_cmp_gt_u64_e32 vcc_lo, s[0:1], v[7:8]
	s_delay_alu instid0(VALU_DEP_3) | instskip(NEXT) | instid1(VALU_DEP_3)
	v_add3_u32 v6, v10, v6, v2
	v_mul_u32_u24_e32 v2, 0x83, v3
	s_delay_alu instid0(VALU_DEP_2) | instskip(NEXT) | instid1(VALU_DEP_2)
	v_lshlrev_b64 v[26:27], 3, v[5:6]
	v_lshlrev_b32_e32 v34, 3, v2
	s_and_saveexec_b32 s1, vcc_lo
	s_cbranch_execz .LBB0_13
; %bb.10:
	v_mov_b32_e32 v25, 0
	s_delay_alu instid0(VALU_DEP_3) | instskip(NEXT) | instid1(VALU_DEP_1)
	v_add_co_u32 v0, s0, s8, v26
	v_add_co_ci_u32_e64 v1, s0, s9, v27, s0
	s_delay_alu instid0(VALU_DEP_3) | instskip(SKIP_1) | instid1(VALU_DEP_1)
	v_lshlrev_b64 v[3:4], 3, v[24:25]
	s_mov_b32 s2, exec_lo
	v_add_co_u32 v3, s0, v0, v3
	s_delay_alu instid0(VALU_DEP_1)
	v_add_co_ci_u32_e64 v4, s0, v1, v4, s0
	s_clause 0x9
	global_load_b64 v[5:6], v[3:4], off
	global_load_b64 v[7:8], v[3:4], off offset:104
	global_load_b64 v[9:10], v[3:4], off offset:208
	global_load_b64 v[11:12], v[3:4], off offset:312
	global_load_b64 v[13:14], v[3:4], off offset:416
	global_load_b64 v[15:16], v[3:4], off offset:520
	global_load_b64 v[17:18], v[3:4], off offset:624
	global_load_b64 v[19:20], v[3:4], off offset:728
	global_load_b64 v[21:22], v[3:4], off offset:832
	global_load_b64 v[28:29], v[3:4], off offset:936
	v_lshlrev_b32_e32 v3, 3, v24
	s_delay_alu instid0(VALU_DEP_1)
	v_add3_u32 v3, 0, v34, v3
	s_waitcnt vmcnt(8)
	ds_store_2addr_b64 v3, v[5:6], v[7:8] offset1:13
	s_waitcnt vmcnt(6)
	ds_store_2addr_b64 v3, v[9:10], v[11:12] offset0:26 offset1:39
	s_waitcnt vmcnt(4)
	ds_store_2addr_b64 v3, v[13:14], v[15:16] offset0:52 offset1:65
	;; [unrolled: 2-line block ×4, first 2 shown]
	v_cmpx_eq_u32_e32 12, v24
	s_cbranch_execz .LBB0_12
; %bb.11:
	global_load_b64 v[0:1], v[0:1], off offset:1040
	v_mov_b32_e32 v24, 12
	s_waitcnt vmcnt(0)
	ds_store_b64 v3, v[0:1] offset:944
.LBB0_12:
	s_or_b32 exec_lo, exec_lo, s2
.LBB0_13:
	s_delay_alu instid0(SALU_CYCLE_1)
	s_or_b32 exec_lo, exec_lo, s1
	v_lshl_add_u32 v32, v2, 3, 0
	v_lshlrev_b32_e32 v4, 3, v24
	s_waitcnt lgkmcnt(0)
	s_barrier
	buffer_gl0_inv
	s_mov_b32 s1, exec_lo
	v_add_nc_u32_e32 v33, v32, v4
	v_sub_nc_u32_e32 v5, v32, v4
	ds_load_b32 v1, v33
	ds_load_b32 v2, v5 offset:1040
	s_waitcnt lgkmcnt(0)
	v_dual_add_f32 v0, v2, v1 :: v_dual_sub_f32 v1, v1, v2
                                        ; implicit-def: $vgpr2_vgpr3
	v_cmpx_ne_u32_e32 0, v24
	s_xor_b32 s1, exec_lo, s1
	s_cbranch_execz .LBB0_15
; %bb.14:
	v_mov_b32_e32 v25, 0
	s_delay_alu instid0(VALU_DEP_1) | instskip(NEXT) | instid1(VALU_DEP_1)
	v_lshlrev_b64 v[2:3], 3, v[24:25]
	v_add_co_u32 v2, s0, s4, v2
	s_delay_alu instid0(VALU_DEP_1)
	v_add_co_ci_u32_e64 v3, s0, s5, v3, s0
	global_load_b64 v[2:3], v[2:3], off offset:936
	ds_load_b32 v6, v5 offset:1044
	ds_load_b32 v7, v33 offset:4
	s_waitcnt lgkmcnt(0)
	v_add_f32_e32 v10, v6, v7
	v_sub_f32_e32 v6, v7, v6
	s_waitcnt vmcnt(0)
	v_fma_f32 v11, v1, v3, v0
	s_delay_alu instid0(VALU_DEP_2) | instskip(SKIP_2) | instid1(VALU_DEP_4)
	v_fma_f32 v7, v10, v3, v6
	v_fma_f32 v8, -v1, v3, v0
	v_fma_f32 v9, v10, v3, -v6
                                        ; implicit-def: $vgpr0
	v_fma_f32 v6, -v2, v10, v11
	s_delay_alu instid0(VALU_DEP_4) | instskip(NEXT) | instid1(VALU_DEP_4)
	v_fmac_f32_e32 v7, v1, v2
	v_fmac_f32_e32 v8, v2, v10
	s_delay_alu instid0(VALU_DEP_4)
	v_dual_fmac_f32 v9, v1, v2 :: v_dual_mov_b32 v2, v24
	v_mov_b32_e32 v3, v25
	ds_store_b64 v33, v[6:7]
	ds_store_b64 v5, v[8:9] offset:1040
.LBB0_15:
	s_and_not1_saveexec_b32 s0, s1
	s_cbranch_execz .LBB0_17
; %bb.16:
	ds_store_b64 v33, v[0:1]
	ds_load_b64 v[0:1], v32 offset:520
	v_mov_b32_e32 v2, 0
	s_waitcnt lgkmcnt(0)
	v_dual_mov_b32 v3, 0 :: v_dual_add_f32 v0, v0, v0
	v_mul_f32_e32 v1, -2.0, v1
	ds_store_b64 v32, v[0:1] offset:520
.LBB0_17:
	s_or_b32 exec_lo, exec_lo, s0
	v_lshlrev_b64 v[0:1], 3, v[2:3]
	s_add_u32 s0, s4, 0x3a8
	s_addc_u32 s1, s5, 0
	v_add3_u32 v25, 0, v4, v34
	s_delay_alu instid0(VALU_DEP_2) | instskip(NEXT) | instid1(VALU_DEP_1)
	v_add_co_u32 v0, s0, s0, v0
	v_add_co_ci_u32_e64 v1, s0, s1, v1, s0
	s_mov_b32 s1, exec_lo
	s_clause 0x3
	global_load_b64 v[2:3], v[0:1], off offset:104
	global_load_b64 v[6:7], v[0:1], off offset:208
	;; [unrolled: 1-line block ×4, first 2 shown]
	ds_load_b64 v[10:11], v33 offset:104
	ds_load_b64 v[12:13], v5 offset:936
	s_waitcnt lgkmcnt(0)
	v_dual_add_f32 v14, v10, v12 :: v_dual_add_f32 v15, v13, v11
	v_sub_f32_e32 v16, v10, v12
	v_sub_f32_e32 v10, v11, v13
	s_waitcnt vmcnt(3)
	s_delay_alu instid0(VALU_DEP_1) | instskip(NEXT) | instid1(VALU_DEP_3)
	v_fma_f32 v11, v15, v3, v10
	v_fma_f32 v17, v16, v3, v14
	v_fma_f32 v12, -v16, v3, v14
	s_delay_alu instid0(VALU_DEP_3) | instskip(SKIP_1) | instid1(VALU_DEP_4)
	v_fmac_f32_e32 v11, v16, v2
	v_fma_f32 v13, v15, v3, -v10
	v_fma_f32 v10, -v2, v15, v17
	s_delay_alu instid0(VALU_DEP_2)
	v_dual_fmac_f32 v12, v2, v15 :: v_dual_fmac_f32 v13, v16, v2
	ds_store_b64 v33, v[10:11] offset:104
	ds_store_b64 v5, v[12:13] offset:936
	ds_load_b64 v[2:3], v33 offset:208
	ds_load_b64 v[10:11], v5 offset:832
	s_waitcnt lgkmcnt(0)
	v_dual_add_f32 v12, v2, v10 :: v_dual_add_f32 v13, v11, v3
	v_sub_f32_e32 v14, v2, v10
	v_sub_f32_e32 v2, v3, v11
	s_waitcnt vmcnt(2)
	s_delay_alu instid0(VALU_DEP_2) | instskip(NEXT) | instid1(VALU_DEP_2)
	v_fma_f32 v15, v14, v7, v12
	v_fma_f32 v3, v13, v7, v2
	v_fma_f32 v10, -v14, v7, v12
	s_delay_alu instid0(VALU_DEP_2) | instskip(SKIP_2) | instid1(VALU_DEP_4)
	v_fmac_f32_e32 v3, v14, v6
	v_fma_f32 v11, v13, v7, -v2
	v_fma_f32 v2, -v6, v13, v15
	v_fmac_f32_e32 v10, v6, v13
	s_delay_alu instid0(VALU_DEP_3)
	v_fmac_f32_e32 v11, v14, v6
	ds_store_b64 v33, v[2:3] offset:208
	ds_store_b64 v5, v[10:11] offset:832
	ds_load_b64 v[2:3], v33 offset:312
	ds_load_b64 v[6:7], v5 offset:728
	s_waitcnt lgkmcnt(0)
	v_dual_add_f32 v10, v2, v6 :: v_dual_add_f32 v11, v7, v3
	v_sub_f32_e32 v12, v2, v6
	v_sub_f32_e32 v2, v3, v7
	s_waitcnt vmcnt(1)
	s_delay_alu instid0(VALU_DEP_2) | instskip(NEXT) | instid1(VALU_DEP_2)
	v_fma_f32 v13, v12, v9, v10
	v_fma_f32 v3, v11, v9, v2
	v_fma_f32 v6, -v12, v9, v10
	v_fma_f32 v7, v11, v9, -v2
	s_delay_alu instid0(VALU_DEP_4) | instskip(NEXT) | instid1(VALU_DEP_4)
	v_fma_f32 v2, -v8, v11, v13
	v_fmac_f32_e32 v3, v12, v8
	s_delay_alu instid0(VALU_DEP_4) | instskip(NEXT) | instid1(VALU_DEP_4)
	v_fmac_f32_e32 v6, v8, v11
	v_fmac_f32_e32 v7, v12, v8
	ds_store_b64 v33, v[2:3] offset:312
	ds_store_b64 v5, v[6:7] offset:728
	ds_load_b64 v[2:3], v33 offset:416
	ds_load_b64 v[6:7], v5 offset:624
	s_waitcnt lgkmcnt(0)
	v_dual_add_f32 v8, v2, v6 :: v_dual_add_f32 v9, v7, v3
	v_dual_sub_f32 v10, v2, v6 :: v_dual_sub_f32 v3, v3, v7
	s_waitcnt vmcnt(0)
	s_delay_alu instid0(VALU_DEP_1) | instskip(NEXT) | instid1(VALU_DEP_2)
	v_fma_f32 v11, v10, v1, v8
	v_fma_f32 v2, v9, v1, v3
	v_fma_f32 v6, -v10, v1, v8
	v_fma_f32 v7, v9, v1, -v3
	s_delay_alu instid0(VALU_DEP_4) | instskip(NEXT) | instid1(VALU_DEP_4)
	v_fma_f32 v1, -v0, v9, v11
	v_fmac_f32_e32 v2, v10, v0
	s_delay_alu instid0(VALU_DEP_3)
	v_dual_fmac_f32 v6, v0, v9 :: v_dual_fmac_f32 v7, v10, v0
	ds_store_b64 v33, v[1:2] offset:416
	ds_store_b64 v5, v[6:7] offset:624
	s_waitcnt lgkmcnt(0)
	s_barrier
	buffer_gl0_inv
	s_barrier
	buffer_gl0_inv
	ds_load_b64 v[28:29], v33
	ds_load_2addr_b64 v[20:23], v25 offset0:10 offset1:20
	ds_load_2addr_b64 v[16:19], v25 offset0:30 offset1:40
	;; [unrolled: 1-line block ×6, first 2 shown]
	s_waitcnt lgkmcnt(0)
	s_barrier
	buffer_gl0_inv
	v_cmpx_gt_u32_e32 10, v24
	s_cbranch_execz .LBB0_19
; %bb.18:
	v_dual_sub_f32 v74, v20, v2 :: v_dual_add_f32 v39, v3, v21
	v_dual_sub_f32 v73, v22, v0 :: v_dual_add_f32 v38, v1, v23
	v_sub_f32_e32 v71, v16, v6
	s_delay_alu instid0(VALU_DEP_3) | instskip(NEXT) | instid1(VALU_DEP_3)
	v_dual_mul_f32 v60, 0xbe750f2a, v74 :: v_dual_add_f32 v37, v7, v17
	v_dual_sub_f32 v69, v18, v4 :: v_dual_mul_f32 v54, 0x3eedf032, v73
	s_delay_alu instid0(VALU_DEP_3) | instskip(NEXT) | instid1(VALU_DEP_3)
	v_dual_add_f32 v36, v11, v13 :: v_dual_mul_f32 v55, 0xbf29c268, v71
	v_fmamk_f32 v30, v39, 0xbf788fa5, v60
	s_delay_alu instid0(VALU_DEP_3) | instskip(NEXT) | instid1(VALU_DEP_4)
	v_dual_sub_f32 v76, v21, v3 :: v_dual_mul_f32 v59, 0x3f52af12, v69
	v_fmamk_f32 v31, v38, 0x3f62ad3f, v54
	v_dual_add_f32 v35, v5, v19 :: v_dual_sub_f32 v70, v12, v10
	s_delay_alu instid0(VALU_DEP_4) | instskip(SKIP_2) | instid1(VALU_DEP_3)
	v_add_f32_e32 v30, v29, v30
	v_dual_add_f32 v40, v2, v20 :: v_dual_sub_f32 v77, v23, v1
	v_dual_fmamk_f32 v42, v37, 0xbf3f9e67, v55 :: v_dual_add_f32 v41, v0, v22
	v_add_f32_e32 v30, v31, v30
	v_mul_f32_e32 v64, 0xbe750f2a, v76
	s_delay_alu instid0(VALU_DEP_4) | instskip(SKIP_4) | instid1(VALU_DEP_4)
	v_mul_f32_e32 v67, 0x3eedf032, v77
	v_dual_fmamk_f32 v31, v35, 0x3f116cb1, v59 :: v_dual_sub_f32 v78, v17, v7
	v_mul_f32_e32 v47, 0xbf6f5d39, v70
	v_add_f32_e32 v30, v42, v30
	v_fma_f32 v42, 0xbf788fa5, v40, -v64
	v_dual_add_f32 v43, v6, v16 :: v_dual_mul_f32 v68, 0xbf29c268, v78
	v_sub_f32_e32 v79, v19, v5
	s_delay_alu instid0(VALU_DEP_4) | instskip(NEXT) | instid1(VALU_DEP_4)
	v_add_f32_e32 v30, v31, v30
	v_add_f32_e32 v31, v28, v42
	v_fma_f32 v42, 0x3f62ad3f, v41, -v67
	v_fmamk_f32 v46, v36, 0xbeb58ec6, v47
	v_dual_sub_f32 v72, v14, v8 :: v_dual_mul_f32 v57, 0x3f52af12, v79
	v_fma_f32 v45, 0xbf3f9e67, v43, -v68
	s_delay_alu instid0(VALU_DEP_4) | instskip(SKIP_2) | instid1(VALU_DEP_3)
	v_dual_add_f32 v31, v42, v31 :: v_dual_add_f32 v44, v4, v18
	v_sub_f32_e32 v80, v13, v11
	v_dual_add_f32 v42, v9, v15 :: v_dual_mul_f32 v65, 0xbf29c268, v74
	v_add_f32_e32 v31, v45, v31
	s_delay_alu instid0(VALU_DEP_4)
	v_fma_f32 v48, 0x3f116cb1, v44, -v57
	v_add_f32_e32 v45, v10, v12
	v_dual_mul_f32 v58, 0xbf6f5d39, v80 :: v_dual_sub_f32 v75, v15, v9
	v_add_f32_e32 v30, v46, v30
	v_mul_f32_e32 v52, 0x3f7e222b, v72
	v_dual_add_f32 v48, v48, v31 :: v_dual_mul_f32 v61, 0xbf29c268, v76
	s_delay_alu instid0(VALU_DEP_4) | instskip(SKIP_1) | instid1(VALU_DEP_4)
	v_fma_f32 v49, 0xbeb58ec6, v45, -v58
	v_mul_f32_e32 v66, 0x3f7e222b, v73
	v_dual_fmamk_f32 v46, v42, 0x3df6dbef, v52 :: v_dual_add_f32 v21, v29, v21
	v_mul_f32_e32 v62, 0xbf52af12, v71
	v_fma_f32 v53, 0xbf3f9e67, v40, -v61
	v_mul_f32_e32 v63, 0x3e750f2a, v69
	s_delay_alu instid0(VALU_DEP_4)
	v_dual_add_f32 v31, v46, v30 :: v_dual_add_f32 v30, v49, v48
	v_mul_f32_e32 v51, 0x3f7e222b, v77
	v_dual_fmamk_f32 v48, v39, 0xbf3f9e67, v65 :: v_dual_add_f32 v21, v21, v23
	v_fmamk_f32 v50, v38, 0x3df6dbef, v66
	v_add_f32_e32 v46, v8, v14
	v_add_f32_e32 v82, v28, v53
	s_delay_alu instid0(VALU_DEP_4) | instskip(SKIP_1) | instid1(VALU_DEP_2)
	v_dual_add_f32 v48, v29, v48 :: v_dual_mul_f32 v53, 0xbf52af12, v78
	v_dual_mul_f32 v56, 0x3eedf032, v70 :: v_dual_add_f32 v17, v21, v17
	v_dual_mul_f32 v21, 0x3eedf032, v71 :: v_dual_add_f32 v48, v50, v48
	v_fmamk_f32 v50, v37, 0x3f116cb1, v62
	s_delay_alu instid0(VALU_DEP_3) | instskip(NEXT) | instid1(VALU_DEP_4)
	v_dual_fmamk_f32 v84, v35, 0xbf788fa5, v63 :: v_dual_add_f32 v17, v17, v19
	v_fmamk_f32 v85, v36, 0x3f62ad3f, v56
	s_delay_alu instid0(VALU_DEP_3) | instskip(SKIP_3) | instid1(VALU_DEP_4)
	v_dual_mul_f32 v87, 0x3f29c268, v73 :: v_dual_add_f32 v50, v50, v48
	v_mul_f32_e32 v49, 0x3f7e222b, v75
	v_fma_f32 v83, 0x3df6dbef, v41, -v51
	v_dual_mul_f32 v48, 0x3e750f2a, v79 :: v_dual_add_f32 v13, v17, v13
	v_add_f32_e32 v84, v84, v50
	s_delay_alu instid0(VALU_DEP_4) | instskip(SKIP_4) | instid1(VALU_DEP_4)
	v_fma_f32 v81, 0x3df6dbef, v46, -v49
	v_mul_f32_e32 v50, 0xbf6f5d39, v72
	v_mul_f32_e32 v17, 0xbf7e222b, v69
	v_add_f32_e32 v15, v13, v15
	v_dual_add_f32 v84, v85, v84 :: v_dual_mul_f32 v85, 0xbf6f5d39, v74
	v_dual_add_f32 v82, v83, v82 :: v_dual_fmamk_f32 v23, v42, 0xbeb58ec6, v50
	v_fma_f32 v83, 0x3f116cb1, v43, -v53
	v_add_f32_e32 v30, v81, v30
	s_delay_alu instid0(VALU_DEP_4) | instskip(SKIP_1) | instid1(VALU_DEP_4)
	v_fmamk_f32 v86, v39, 0xbeb58ec6, v85
	v_dual_add_f32 v9, v15, v9 :: v_dual_mul_f32 v88, 0x3e750f2a, v70
	v_add_f32_e32 v82, v83, v82
	v_fma_f32 v83, 0xbf788fa5, v44, -v48
	s_delay_alu instid0(VALU_DEP_4) | instskip(NEXT) | instid1(VALU_DEP_4)
	v_dual_add_f32 v81, v29, v86 :: v_dual_fmamk_f32 v86, v38, 0xbf3f9e67, v87
	v_add_f32_e32 v9, v9, v11
	s_delay_alu instid0(VALU_DEP_3) | instskip(NEXT) | instid1(VALU_DEP_3)
	v_dual_mul_f32 v89, 0xbf7e222b, v79 :: v_dual_add_f32 v82, v83, v82
	v_dual_mul_f32 v90, 0x3f6f5d39, v71 :: v_dual_add_f32 v19, v86, v81
	v_dual_fmamk_f32 v81, v37, 0x3f62ad3f, v21 :: v_dual_add_f32 v20, v28, v20
	s_delay_alu instid0(VALU_DEP_4) | instskip(SKIP_2) | instid1(VALU_DEP_4)
	v_add_f32_e32 v5, v9, v5
	v_mul_f32_e32 v101, 0xbe750f2a, v71
	v_mul_f32_e32 v71, 0xbf7e222b, v71
	v_add_f32_e32 v13, v81, v19
	v_dual_fmamk_f32 v19, v35, 0x3df6dbef, v17 :: v_dual_add_f32 v20, v20, v22
	v_dual_mul_f32 v22, 0x3eedf032, v80 :: v_dual_add_f32 v5, v5, v7
	v_mul_f32_e32 v104, 0x3f29c268, v69
	s_delay_alu instid0(VALU_DEP_3) | instskip(NEXT) | instid1(VALU_DEP_3)
	v_dual_add_f32 v19, v19, v13 :: v_dual_add_f32 v16, v20, v16
	v_fma_f32 v83, 0x3f62ad3f, v45, -v22
	v_add_f32_e32 v13, v23, v84
	v_dual_add_f32 v1, v5, v1 :: v_dual_mul_f32 v84, 0xbf7e222b, v76
	s_delay_alu instid0(VALU_DEP_4) | instskip(NEXT) | instid1(VALU_DEP_4)
	v_add_f32_e32 v16, v16, v18
	v_add_f32_e32 v20, v83, v82
	v_mul_f32_e32 v82, 0xbf6f5d39, v76
	v_mul_f32_e32 v18, 0xbf6f5d39, v75
	s_delay_alu instid0(VALU_DEP_4) | instskip(SKIP_1) | instid1(VALU_DEP_4)
	v_dual_add_f32 v1, v1, v3 :: v_dual_add_f32 v12, v16, v12
	v_mul_f32_e32 v16, 0x3f29c268, v77
	v_fma_f32 v83, 0xbeb58ec6, v40, -v82
	v_fma_f32 v3, 0x3df6dbef, v40, -v84
	v_mul_f32_e32 v86, 0x3eedf032, v78
	v_add_f32_e32 v14, v12, v14
	v_fma_f32 v12, 0xbf3f9e67, v41, -v16
	v_add_f32_e32 v83, v28, v83
	v_add_f32_e32 v3, v28, v3
	v_fma_f32 v81, 0xbeb58ec6, v46, -v18
	v_dual_add_f32 v8, v14, v8 :: v_dual_mul_f32 v91, 0xbe750f2a, v77
	s_delay_alu instid0(VALU_DEP_4) | instskip(SKIP_1) | instid1(VALU_DEP_3)
	v_add_f32_e32 v12, v12, v83
	v_fma_f32 v83, 0x3f62ad3f, v43, -v86
	v_dual_mul_f32 v93, 0x3eedf032, v69 :: v_dual_add_f32 v8, v8, v10
	v_mul_f32_e32 v95, 0xbf52af12, v70
	v_mul_f32_e32 v97, 0xbf29c268, v72
	s_delay_alu instid0(VALU_DEP_4) | instskip(NEXT) | instid1(VALU_DEP_4)
	v_add_f32_e32 v23, v83, v12
	v_fmamk_f32 v7, v35, 0x3f62ad3f, v93
	v_dual_fmamk_f32 v83, v36, 0xbf788fa5, v88 :: v_dual_add_f32 v12, v81, v20
	v_fma_f32 v20, 0x3df6dbef, v44, -v89
	v_mul_f32_e32 v81, 0x3e750f2a, v80
	v_add_f32_e32 v4, v8, v4
	s_delay_alu instid0(VALU_DEP_4)
	v_add_f32_e32 v14, v83, v19
	v_fma_f32 v5, 0xbf788fa5, v41, -v91
	v_add_f32_e32 v10, v20, v23
	v_fma_f32 v11, 0xbf788fa5, v45, -v81
	v_mul_f32_e32 v20, 0xbf7e222b, v74
	v_dual_add_f32 v4, v4, v6 :: v_dual_mul_f32 v23, 0xbe750f2a, v73
	v_mul_f32_e32 v99, 0xbf6f5d39, v73
	s_delay_alu instid0(VALU_DEP_4) | instskip(NEXT) | instid1(VALU_DEP_4)
	v_add_f32_e32 v9, v11, v10
	v_fmamk_f32 v10, v39, 0x3df6dbef, v20
	s_delay_alu instid0(VALU_DEP_4)
	v_add_f32_e32 v0, v4, v0
	v_fmamk_f32 v4, v38, 0xbf788fa5, v23
	v_mul_f32_e32 v69, 0xbf6f5d39, v69
	v_fmac_f32_e32 v64, 0xbf788fa5, v40
	v_add_f32_e32 v6, v29, v10
	v_add_f32_e32 v0, v0, v2
	v_mul_f32_e32 v92, 0x3f6f5d39, v78
	v_mul_f32_e32 v83, 0x3f52af12, v75
	v_dual_mul_f32 v94, 0x3eedf032, v79 :: v_dual_mul_f32 v109, 0x3eedf032, v72
	v_dual_add_f32 v2, v4, v6 :: v_dual_mul_f32 v103, 0xbf6f5d39, v77
	v_fmamk_f32 v4, v37, 0xbeb58ec6, v90
	s_delay_alu instid0(VALU_DEP_4) | instskip(SKIP_2) | instid1(VALU_DEP_4)
	v_fma_f32 v6, 0x3f116cb1, v46, -v83
	v_dual_mul_f32 v96, 0xbf52af12, v80 :: v_dual_mul_f32 v73, 0xbf52af12, v73
	v_dual_mul_f32 v98, 0xbf52af12, v74 :: v_dual_mul_f32 v77, 0xbf52af12, v77
	v_add_f32_e32 v2, v4, v2
	v_dual_add_f32 v4, v5, v3 :: v_dual_mul_f32 v105, 0xbe750f2a, v78
	v_fma_f32 v5, 0xbeb58ec6, v43, -v92
	s_delay_alu instid0(VALU_DEP_3) | instskip(SKIP_2) | instid1(VALU_DEP_4)
	v_dual_mul_f32 v107, 0x3f29c268, v79 :: v_dual_add_f32 v2, v7, v2
	v_fmamk_f32 v7, v36, 0x3f116cb1, v95
	v_fma_f32 v47, 0xbeb58ec6, v36, -v47
	v_add_f32_e32 v4, v5, v4
	v_fma_f32 v5, 0x3f62ad3f, v44, -v94
	v_mul_f32_e32 v106, 0x3f7e222b, v70
	v_mul_f32_e32 v79, 0xbf6f5d39, v79
	v_mul_f32_e32 v19, 0x3f52af12, v72
	s_delay_alu instid0(VALU_DEP_4)
	v_dual_fmac_f32 v67, 0x3f62ad3f, v41 :: v_dual_add_f32 v4, v5, v4
	v_add_f32_e32 v5, v7, v2
	v_fma_f32 v7, 0x3f116cb1, v45, -v96
	v_add_f32_e32 v2, v6, v9
	v_dual_fmamk_f32 v6, v39, 0x3f116cb1, v98 :: v_dual_fmac_f32 v57, 0x3f116cb1, v44
	v_fmac_f32_e32 v61, 0xbf3f9e67, v40
	s_delay_alu instid0(VALU_DEP_4) | instskip(NEXT) | instid1(VALU_DEP_3)
	v_dual_add_f32 v4, v7, v4 :: v_dual_fmamk_f32 v7, v38, 0xbeb58ec6, v99
	v_add_f32_e32 v6, v29, v6
	v_mul_f32_e32 v100, 0xbf52af12, v76
	v_mul_f32_e32 v70, 0xbf29c268, v70
	v_fma_f32 v9, 0xbeb58ec6, v41, -v103
	v_mul_f32_e32 v102, 0xbf29c268, v75
	v_dual_add_f32 v6, v7, v6 :: v_dual_fmamk_f32 v7, v37, 0xbf788fa5, v101
	s_delay_alu instid0(VALU_DEP_4) | instskip(SKIP_1) | instid1(VALU_DEP_4)
	v_fmamk_f32 v15, v36, 0xbf3f9e67, v70
	v_mul_f32_e32 v108, 0x3f7e222b, v80
	v_fma_f32 v10, 0xbf3f9e67, v46, -v102
	v_fmac_f32_e32 v49, 0x3df6dbef, v46
	v_add_f32_e32 v6, v7, v6
	v_fmamk_f32 v7, v35, 0xbf3f9e67, v104
	v_fma_f32 v11, 0x3f116cb1, v41, -v77
	v_mul_f32_e32 v78, 0xbf7e222b, v78
	v_fmac_f32_e32 v48, 0xbf788fa5, v44
	v_fma_f32 v17, 0x3df6dbef, v35, -v17
	v_dual_add_f32 v6, v7, v6 :: v_dual_fmamk_f32 v7, v36, 0x3df6dbef, v106
	v_fmac_f32_e32 v51, 0x3df6dbef, v41
	v_mul_f32_e32 v74, 0xbeedf032, v74
	v_mul_f32_e32 v110, 0x3eedf032, v75
	v_fmac_f32_e32 v22, 0x3f62ad3f, v45
	v_add_f32_e32 v6, v7, v6
	v_fmamk_f32 v8, v42, 0x3f116cb1, v19
	v_fma_f32 v19, 0x3f116cb1, v42, -v19
	v_mul_f32_e32 v80, 0xbf29c268, v80
	v_fmac_f32_e32 v58, 0xbeb58ec6, v45
	v_fma_f32 v21, 0x3f62ad3f, v37, -v21
	v_dual_add_f32 v3, v8, v14 :: v_dual_fmamk_f32 v8, v42, 0xbf3f9e67, v97
	v_fmac_f32_e32 v53, 0x3f116cb1, v43
	v_mul_f32_e32 v76, 0xbeedf032, v76
	v_fma_f32 v14, 0x3f62ad3f, v46, -v110
	s_delay_alu instid0(VALU_DEP_4)
	v_dual_fmac_f32 v18, 0xbeb58ec6, v46 :: v_dual_add_f32 v5, v8, v5
	v_fma_f32 v8, 0x3f116cb1, v40, -v100
	v_fmac_f32_e32 v84, 0x3df6dbef, v40
	v_fmac_f32_e32 v94, 0x3f62ad3f, v44
	v_fmac_f32_e32 v96, 0x3f116cb1, v45
	v_fmac_f32_e32 v86, 0x3f62ad3f, v43
	v_add_f32_e32 v8, v28, v8
	v_fmac_f32_e32 v89, 0x3df6dbef, v44
	v_fmac_f32_e32 v81, 0xbf788fa5, v45
	;; [unrolled: 1-line block ×3, first 2 shown]
	s_delay_alu instid0(VALU_DEP_4) | instskip(SKIP_4) | instid1(VALU_DEP_4)
	v_dual_fmac_f32 v91, 0xbf788fa5, v41 :: v_dual_add_f32 v8, v9, v8
	v_fma_f32 v9, 0xbf788fa5, v43, -v105
	v_fmac_f32_e32 v105, 0xbf788fa5, v43
	v_fmac_f32_e32 v68, 0xbf3f9e67, v43
	;; [unrolled: 1-line block ×3, first 2 shown]
	v_dual_fmac_f32 v77, 0x3f116cb1, v41 :: v_dual_add_f32 v8, v9, v8
	v_fma_f32 v9, 0xbf3f9e67, v44, -v107
	v_fmac_f32_e32 v107, 0xbf3f9e67, v44
	s_delay_alu instid0(VALU_DEP_2) | instskip(SKIP_4) | instid1(VALU_DEP_2)
	v_add_f32_e32 v7, v9, v8
	v_fmamk_f32 v9, v42, 0x3f62ad3f, v109
	v_add_f32_e32 v4, v10, v4
	v_fma_f32 v8, 0x3df6dbef, v45, -v108
	v_fmamk_f32 v10, v39, 0x3f62ad3f, v74
	v_dual_add_f32 v8, v8, v7 :: v_dual_add_f32 v7, v9, v6
	s_delay_alu instid0(VALU_DEP_2) | instskip(SKIP_1) | instid1(VALU_DEP_2)
	v_dual_add_f32 v6, v29, v10 :: v_dual_fmamk_f32 v9, v38, 0x3f116cb1, v73
	v_fma_f32 v10, 0x3f62ad3f, v40, -v76
	v_add_f32_e32 v6, v9, v6
	s_delay_alu instid0(VALU_DEP_2) | instskip(NEXT) | instid1(VALU_DEP_1)
	v_dual_fmamk_f32 v9, v37, 0x3df6dbef, v71 :: v_dual_add_f32 v10, v28, v10
	v_dual_add_f32 v6, v9, v6 :: v_dual_fmamk_f32 v9, v35, 0xbeb58ec6, v69
	s_delay_alu instid0(VALU_DEP_2) | instskip(SKIP_1) | instid1(VALU_DEP_3)
	v_add_f32_e32 v10, v11, v10
	v_fma_f32 v11, 0x3df6dbef, v43, -v78
	v_dual_add_f32 v9, v9, v6 :: v_dual_add_f32 v6, v14, v8
	s_delay_alu instid0(VALU_DEP_2) | instskip(SKIP_4) | instid1(VALU_DEP_4)
	v_add_f32_e32 v10, v11, v10
	v_fma_f32 v11, 0xbeb58ec6, v44, -v79
	v_fma_f32 v8, 0xbf788fa5, v39, -v60
	;; [unrolled: 1-line block ×3, first 2 shown]
	v_dual_add_f32 v9, v15, v9 :: v_dual_mul_f32 v54, 0xbe750f2a, v72
	v_add_f32_e32 v10, v11, v10
	v_fma_f32 v11, 0xbf3f9e67, v45, -v80
	v_add_f32_e32 v8, v29, v8
	v_add_f32_e32 v15, v28, v64
	v_dual_fmac_f32 v79, 0xbeb58ec6, v44 :: v_dual_fmac_f32 v92, 0xbeb58ec6, v43
	s_delay_alu instid0(VALU_DEP_4) | instskip(NEXT) | instid1(VALU_DEP_4)
	v_add_f32_e32 v10, v11, v10
	v_add_f32_e32 v8, v14, v8
	v_fma_f32 v11, 0xbf3f9e67, v37, -v55
	v_dual_fmamk_f32 v14, v42, 0xbf788fa5, v54 :: v_dual_add_f32 v15, v67, v15
	v_mul_f32_e32 v55, 0xbe750f2a, v75
	v_fmac_f32_e32 v100, 0x3f116cb1, v40
	s_delay_alu instid0(VALU_DEP_4) | instskip(SKIP_4) | instid1(VALU_DEP_4)
	v_add_f32_e32 v8, v11, v8
	v_fma_f32 v11, 0x3f116cb1, v35, -v59
	v_dual_add_f32 v9, v14, v9 :: v_dual_add_f32 v14, v68, v15
	v_fma_f32 v15, 0xbf788fa5, v46, -v55
	v_fma_f32 v59, 0xbf3f9e67, v39, -v65
	v_dual_add_f32 v11, v11, v8 :: v_dual_fmac_f32 v102, 0xbf3f9e67, v46
	s_delay_alu instid0(VALU_DEP_4) | instskip(SKIP_1) | instid1(VALU_DEP_3)
	v_add_f32_e32 v14, v57, v14
	v_fmac_f32_e32 v55, 0xbf788fa5, v46
	v_add_f32_e32 v11, v47, v11
	v_fma_f32 v47, 0x3df6dbef, v42, -v52
	s_delay_alu instid0(VALU_DEP_4) | instskip(SKIP_1) | instid1(VALU_DEP_3)
	v_add_f32_e32 v14, v58, v14
	v_fma_f32 v52, 0xbf788fa5, v35, -v63
	v_add_f32_e32 v11, v47, v11
	v_add_f32_e32 v47, v28, v61
	v_fmac_f32_e32 v108, 0x3df6dbef, v45
	v_add_f32_e32 v8, v15, v10
	v_add_f32_e32 v10, v29, v59
	v_fma_f32 v15, 0x3df6dbef, v38, -v66
	v_add_f32_e32 v47, v51, v47
	v_fma_f32 v51, 0xbf3f9e67, v38, -v87
	s_delay_alu instid0(VALU_DEP_3) | instskip(SKIP_1) | instid1(VALU_DEP_4)
	v_add_f32_e32 v10, v15, v10
	v_fma_f32 v15, 0x3f116cb1, v37, -v62
	v_dual_add_f32 v47, v53, v47 :: v_dual_fmac_f32 v76, 0x3f62ad3f, v40
	s_delay_alu instid0(VALU_DEP_2) | instskip(SKIP_2) | instid1(VALU_DEP_4)
	v_add_f32_e32 v15, v15, v10
	v_add_f32_e32 v10, v49, v14
	v_fma_f32 v14, 0xbeb58ec6, v39, -v85
	v_add_f32_e32 v47, v48, v47
	v_fma_f32 v49, 0x3f62ad3f, v36, -v56
	s_delay_alu instid0(VALU_DEP_3) | instskip(NEXT) | instid1(VALU_DEP_1)
	v_dual_add_f32 v15, v52, v15 :: v_dual_add_f32 v14, v29, v14
	v_add_f32_e32 v15, v49, v15
	v_fma_f32 v49, 0xbeb58ec6, v42, -v50
	s_delay_alu instid0(VALU_DEP_3) | instskip(SKIP_1) | instid1(VALU_DEP_3)
	v_add_f32_e32 v14, v51, v14
	v_fmac_f32_e32 v78, 0x3df6dbef, v43
	v_add_f32_e32 v15, v49, v15
	s_delay_alu instid0(VALU_DEP_3) | instskip(SKIP_1) | instid1(VALU_DEP_2)
	v_dual_add_f32 v14, v21, v14 :: v_dual_add_f32 v21, v22, v47
	v_fma_f32 v22, 0xbf788fa5, v36, -v88
	v_dual_add_f32 v17, v17, v14 :: v_dual_add_f32 v14, v18, v21
	v_fma_f32 v18, 0x3df6dbef, v39, -v20
	v_fma_f32 v20, 0xbf788fa5, v38, -v23
	;; [unrolled: 1-line block ×3, first 2 shown]
	s_delay_alu instid0(VALU_DEP_4)
	v_add_f32_e32 v17, v22, v17
	v_fma_f32 v22, 0xbeb58ec6, v38, -v99
	v_add_f32_e32 v18, v29, v18
	v_fma_f32 v23, 0x3f62ad3f, v39, -v74
	v_add_f32_e32 v21, v29, v21
	v_add_f32_e32 v17, v19, v17
	v_fma_f32 v19, 0xbeb58ec6, v37, -v90
	v_add_f32_e32 v18, v20, v18
	s_delay_alu instid0(VALU_DEP_4) | instskip(SKIP_2) | instid1(VALU_DEP_4)
	v_dual_add_f32 v20, v28, v84 :: v_dual_add_f32 v21, v22, v21
	v_fma_f32 v22, 0xbf788fa5, v37, -v101
	v_fmac_f32_e32 v80, 0xbf3f9e67, v45
	v_add_f32_e32 v18, v19, v18
	v_fma_f32 v19, 0x3f62ad3f, v35, -v93
	s_delay_alu instid0(VALU_DEP_4) | instskip(SKIP_2) | instid1(VALU_DEP_4)
	v_dual_add_f32 v20, v91, v20 :: v_dual_add_f32 v21, v22, v21
	v_fma_f32 v22, 0xbf3f9e67, v35, -v104
	v_fmac_f32_e32 v110, 0x3f62ad3f, v46
	v_add_f32_e32 v18, v19, v18
	v_fma_f32 v19, 0x3f116cb1, v36, -v95
	v_add_f32_e32 v20, v92, v20
	s_delay_alu instid0(VALU_DEP_2) | instskip(SKIP_1) | instid1(VALU_DEP_1)
	v_add_f32_e32 v18, v19, v18
	v_fma_f32 v19, 0xbf3f9e67, v42, -v97
	v_dual_add_f32 v20, v94, v20 :: v_dual_add_f32 v19, v19, v18
	s_delay_alu instid0(VALU_DEP_1) | instskip(SKIP_3) | instid1(VALU_DEP_4)
	v_add_f32_e32 v18, v96, v20
	v_add_f32_e32 v20, v22, v21
	v_fma_f32 v21, 0x3df6dbef, v36, -v106
	v_add_f32_e32 v22, v28, v100
	v_add_f32_e32 v18, v102, v18
	s_delay_alu instid0(VALU_DEP_2) | instskip(SKIP_3) | instid1(VALU_DEP_2)
	v_dual_add_f32 v20, v21, v20 :: v_dual_add_f32 v21, v103, v22
	v_add_f32_e32 v22, v29, v23
	v_fma_f32 v23, 0x3f116cb1, v38, -v73
	v_fma_f32 v29, 0x3f62ad3f, v42, -v109
	v_dual_add_f32 v21, v105, v21 :: v_dual_add_f32 v22, v23, v22
	v_fma_f32 v23, 0x3df6dbef, v37, -v71
	s_delay_alu instid0(VALU_DEP_2) | instskip(NEXT) | instid1(VALU_DEP_2)
	v_add_f32_e32 v21, v107, v21
	v_add_f32_e32 v22, v23, v22
	v_fma_f32 v23, 0xbeb58ec6, v35, -v69
	s_delay_alu instid0(VALU_DEP_3) | instskip(NEXT) | instid1(VALU_DEP_2)
	v_dual_fmac_f32 v82, 0xbeb58ec6, v40 :: v_dual_add_f32 v35, v108, v21
	v_add_f32_e32 v21, v23, v22
	s_delay_alu instid0(VALU_DEP_2) | instskip(SKIP_3) | instid1(VALU_DEP_3)
	v_add_f32_e32 v48, v28, v82
	v_add_f32_e32 v28, v28, v76
	v_fma_f32 v22, 0xbf3f9e67, v36, -v70
	v_fma_f32 v36, 0xbf788fa5, v42, -v54
	v_add_f32_e32 v28, v77, v28
	s_delay_alu instid0(VALU_DEP_3) | instskip(SKIP_2) | instid1(VALU_DEP_4)
	v_add_f32_e32 v22, v22, v21
	v_dual_fmac_f32 v16, 0xbf3f9e67, v41 :: v_dual_add_f32 v21, v29, v20
	v_add_f32_e32 v20, v110, v35
	v_add_f32_e32 v28, v78, v28
	s_delay_alu instid0(VALU_DEP_1) | instskip(SKIP_1) | instid1(VALU_DEP_2)
	v_add_f32_e32 v23, v79, v28
	v_mul_u32_u24_e32 v28, 0x68, v24
	v_add_f32_e32 v37, v80, v23
	v_add_f32_e32 v23, v36, v22
	;; [unrolled: 1-line block ×3, first 2 shown]
	s_delay_alu instid0(VALU_DEP_4) | instskip(NEXT) | instid1(VALU_DEP_4)
	v_add3_u32 v28, 0, v28, v34
	v_add_f32_e32 v22, v55, v37
	s_delay_alu instid0(VALU_DEP_3) | instskip(NEXT) | instid1(VALU_DEP_1)
	v_add_f32_e32 v16, v86, v16
	v_add_f32_e32 v16, v89, v16
	s_delay_alu instid0(VALU_DEP_1) | instskip(NEXT) | instid1(VALU_DEP_1)
	v_add_f32_e32 v16, v81, v16
	v_add_f32_e32 v16, v83, v16
	ds_store_2addr_b64 v28, v[0:1], v[8:9] offset1:1
	ds_store_2addr_b64 v28, v[6:7], v[4:5] offset0:2 offset1:3
	ds_store_2addr_b64 v28, v[2:3], v[12:13] offset0:4 offset1:5
	;; [unrolled: 1-line block ×5, first 2 shown]
	ds_store_b64 v28, v[22:23] offset:96
.LBB0_19:
	s_or_b32 exec_lo, exec_lo, s1
	v_mul_u32_u24_e32 v0, 9, v24
	s_waitcnt lgkmcnt(0)
	s_barrier
	buffer_gl0_inv
	v_lshlrev_b32_e32 v16, 3, v0
	s_clause 0x4
	global_load_b128 v[0:3], v16, s[4:5]
	global_load_b128 v[4:7], v16, s[4:5] offset:16
	global_load_b128 v[8:11], v16, s[4:5] offset:32
	;; [unrolled: 1-line block ×3, first 2 shown]
	global_load_b64 v[38:39], v16, s[4:5] offset:64
	ds_load_2addr_b64 v[16:19], v25 offset0:13 offset1:26
	ds_load_2addr_b64 v[20:23], v25 offset0:39 offset1:52
	;; [unrolled: 1-line block ×4, first 2 shown]
	ds_load_b64 v[40:41], v33
	ds_load_b64 v[42:43], v25 offset:936
	s_waitcnt vmcnt(0) lgkmcnt(0)
	s_barrier
	buffer_gl0_inv
	v_mul_f32_e32 v33, v1, v17
	v_dual_mul_f32 v44, v1, v16 :: v_dual_mul_f32 v1, v3, v19
	v_dual_mul_f32 v3, v3, v18 :: v_dual_mul_f32 v50, v37, v15
	;; [unrolled: 1-line block ×4, first 2 shown]
	s_delay_alu instid0(VALU_DEP_4)
	v_dual_mul_f32 v7, v7, v22 :: v_dual_fmac_f32 v44, v0, v17
	v_fma_f32 v16, v0, v16, -v33
	v_fma_f32 v0, v2, v18, -v1
	v_fmac_f32_e32 v3, v2, v19
	v_fma_f32 v2, v6, v22, -v46
	v_mul_f32_e32 v11, v30, v11
	v_mul_f32_e32 v47, v9, v29
	v_fma_f32 v1, v4, v20, -v45
	v_fmac_f32_e32 v7, v6, v23
	v_fma_f32 v6, v30, v10, -v48
	v_sub_f32_e32 v20, v0, v2
	v_fmac_f32_e32 v11, v31, v10
	v_fma_f32 v10, v36, v14, -v50
	v_mul_f32_e32 v15, v36, v15
	v_mul_f32_e32 v49, v35, v13
	;; [unrolled: 1-line block ×3, first 2 shown]
	s_delay_alu instid0(VALU_DEP_4) | instskip(NEXT) | instid1(VALU_DEP_4)
	v_dual_sub_f32 v23, v2, v0 :: v_dual_add_f32 v22, v0, v10
	v_fmac_f32_e32 v15, v37, v14
	v_mul_f32_e32 v9, v9, v28
	v_fmac_f32_e32 v5, v4, v21
	v_add_f32_e32 v14, v40, v0
	v_fma_f32 v4, v8, v28, -v47
	s_delay_alu instid0(VALU_DEP_4) | instskip(SKIP_1) | instid1(VALU_DEP_3)
	v_dual_sub_f32 v18, v3, v15 :: v_dual_fmac_f32 v9, v8, v29
	v_fma_f32 v8, v34, v12, -v49
	v_dual_mul_f32 v39, v42, v39 :: v_dual_sub_f32 v48, v4, v1
	v_dual_mul_f32 v13, v34, v13 :: v_dual_add_f32 v30, v7, v11
	v_sub_f32_e32 v0, v0, v10
	s_delay_alu instid0(VALU_DEP_4) | instskip(SKIP_1) | instid1(VALU_DEP_4)
	v_sub_f32_e32 v52, v4, v8
	v_sub_f32_e32 v34, v15, v11
	v_dual_fmac_f32 v13, v35, v12 :: v_dual_add_f32 v50, v44, v5
	v_fma_f32 v12, v42, v38, -v51
	v_sub_f32_e32 v21, v10, v6
	v_fmac_f32_e32 v39, v43, v38
	v_add_f32_e32 v17, v2, v6
	v_sub_f32_e32 v28, v6, v10
	v_dual_sub_f32 v46, v12, v8 :: v_dual_add_f32 v29, v41, v3
	v_sub_f32_e32 v49, v8, v12
	v_sub_f32_e32 v31, v2, v6
	v_add_f32_e32 v2, v14, v2
	v_add_f32_e32 v14, v20, v21
	v_sub_f32_e32 v42, v5, v39
	v_dual_sub_f32 v36, v11, v15 :: v_dual_add_f32 v51, v9, v13
	v_sub_f32_e32 v53, v5, v9
	v_sub_f32_e32 v54, v39, v13
	;; [unrolled: 1-line block ×3, first 2 shown]
	v_add_f32_e32 v55, v5, v39
	v_dual_add_f32 v35, v3, v15 :: v_dual_add_f32 v2, v2, v6
	v_add_f32_e32 v37, v16, v1
	v_fma_f32 v20, -0.5, v22, v40
	v_add_f32_e32 v21, v23, v28
	v_fma_f32 v22, -0.5, v30, v41
	v_dual_add_f32 v2, v2, v10 :: v_dual_sub_f32 v3, v7, v3
	v_add_f32_e32 v23, v33, v34
	v_fma_f32 v33, -0.5, v51, v44
	v_fmac_f32_e32 v44, -0.5, v55
	v_dual_sub_f32 v19, v7, v11 :: v_dual_add_f32 v38, v4, v8
	v_sub_f32_e32 v45, v1, v4
	v_add_f32_e32 v4, v37, v4
	v_sub_f32_e32 v43, v9, v13
	v_add_f32_e32 v30, v48, v49
	v_fmamk_f32 v37, v0, 0xbf737871, v22
	v_fmac_f32_e32 v22, 0x3f737871, v0
	v_add_f32_e32 v3, v3, v36
	v_dual_fmamk_f32 v36, v19, 0xbf737871, v20 :: v_dual_add_f32 v7, v29, v7
	v_fma_f32 v28, -0.5, v38, v16
	v_add_f32_e32 v4, v4, v8
	v_sub_f32_e32 v56, v13, v39
	s_delay_alu instid0(VALU_DEP_4) | instskip(SKIP_1) | instid1(VALU_DEP_4)
	v_dual_fmac_f32 v36, 0x3f167918, v18 :: v_dual_add_f32 v47, v1, v12
	v_dual_add_f32 v6, v7, v11 :: v_dual_sub_f32 v1, v1, v12
	v_add_f32_e32 v4, v4, v12
	v_fma_f32 v17, -0.5, v17, v40
	s_delay_alu instid0(VALU_DEP_4) | instskip(SKIP_3) | instid1(VALU_DEP_4)
	v_dual_fmac_f32 v16, -0.5, v47 :: v_dual_sub_f32 v5, v9, v5
	v_add_f32_e32 v9, v50, v9
	v_fmac_f32_e32 v36, 0x3e9e377a, v21
	v_fmamk_f32 v7, v42, 0x3f737871, v28
	v_fmamk_f32 v8, v43, 0xbf737871, v16
	s_delay_alu instid0(VALU_DEP_4) | instskip(SKIP_2) | instid1(VALU_DEP_3)
	v_dual_fmac_f32 v28, 0xbf737871, v42 :: v_dual_add_f32 v9, v9, v13
	v_fmamk_f32 v13, v52, 0x3f737871, v44
	v_dual_fmac_f32 v16, 0x3f737871, v43 :: v_dual_add_f32 v5, v5, v56
	v_fmac_f32_e32 v28, 0xbf167918, v43
	s_delay_alu instid0(VALU_DEP_4) | instskip(NEXT) | instid1(VALU_DEP_4)
	v_dual_fmac_f32 v8, 0x3f167918, v42 :: v_dual_add_f32 v9, v9, v39
	v_fmac_f32_e32 v13, 0xbf167918, v1
	v_fmac_f32_e32 v20, 0x3f737871, v19
	v_dual_fmac_f32 v41, -0.5, v35 :: v_dual_fmac_f32 v44, 0xbf737871, v52
	s_delay_alu instid0(VALU_DEP_3) | instskip(SKIP_1) | instid1(VALU_DEP_4)
	v_dual_add_f32 v34, v53, v54 :: v_dual_fmac_f32 v13, 0x3e9e377a, v5
	v_fmamk_f32 v35, v18, 0x3f737871, v17
	v_fmac_f32_e32 v20, 0xbf167918, v18
	s_delay_alu instid0(VALU_DEP_4) | instskip(SKIP_1) | instid1(VALU_DEP_4)
	v_fmac_f32_e32 v44, 0x3f167918, v1
	v_dual_fmamk_f32 v38, v31, 0x3f737871, v41 :: v_dual_add_f32 v29, v45, v46
	v_fmac_f32_e32 v35, 0x3f167918, v19
	s_delay_alu instid0(VALU_DEP_4) | instskip(SKIP_1) | instid1(VALU_DEP_4)
	v_fmac_f32_e32 v20, 0x3e9e377a, v21
	v_fmamk_f32 v11, v1, 0xbf737871, v33
	v_fmac_f32_e32 v38, 0xbf167918, v0
	v_fmac_f32_e32 v7, 0x3f167918, v43
	;; [unrolled: 1-line block ×5, first 2 shown]
	s_delay_alu instid0(VALU_DEP_4) | instskip(SKIP_2) | instid1(VALU_DEP_4)
	v_dual_fmac_f32 v38, 0x3e9e377a, v3 :: v_dual_fmac_f32 v7, 0x3e9e377a, v29
	v_fmac_f32_e32 v44, 0x3e9e377a, v5
	v_fmac_f32_e32 v17, 0xbf737871, v18
	;; [unrolled: 1-line block ×4, first 2 shown]
	v_add_f32_e32 v6, v6, v15
	v_fmac_f32_e32 v8, 0x3e9e377a, v30
	v_fmac_f32_e32 v28, 0x3e9e377a, v29
	v_mul_f32_e32 v12, 0x3f167918, v11
	v_fmac_f32_e32 v16, 0x3e9e377a, v30
	v_mul_f32_e32 v15, 0xbf167918, v7
	v_fmac_f32_e32 v22, 0x3e9e377a, v23
	s_delay_alu instid0(VALU_DEP_4) | instskip(SKIP_4) | instid1(VALU_DEP_4)
	v_dual_mul_f32 v5, 0x3f4f1bbd, v28 :: v_dual_fmac_f32 v12, 0x3f4f1bbd, v7
	v_fmac_f32_e32 v41, 0xbf737871, v31
	v_fmac_f32_e32 v33, 0x3f737871, v1
	v_add_f32_e32 v1, v6, v9
	v_fmac_f32_e32 v15, 0x3f4f1bbd, v11
	v_fmac_f32_e32 v41, 0x3f167918, v0
	v_dual_add_f32 v0, v2, v4 :: v_dual_fmac_f32 v17, 0xbf167918, v19
	v_sub_f32_e32 v2, v2, v4
	s_delay_alu instid0(VALU_DEP_3) | instskip(SKIP_1) | instid1(VALU_DEP_4)
	v_dual_mul_f32 v4, 0x3e9e377a, v16 :: v_dual_fmac_f32 v41, 0x3e9e377a, v3
	v_mul_f32_e32 v19, 0xbf737871, v8
	v_fmac_f32_e32 v17, 0x3e9e377a, v14
	v_mul_f32_e32 v14, 0x3f737871, v13
	v_sub_f32_e32 v3, v6, v9
	v_fma_f32 v18, 0x3f737871, v44, -v4
	v_add_f32_e32 v4, v35, v12
	v_sub_f32_e32 v12, v35, v12
	v_fmac_f32_e32 v14, 0x3e9e377a, v8
	v_fmac_f32_e32 v37, 0xbf167918, v31
	;; [unrolled: 1-line block ×3, first 2 shown]
	v_dual_mul_f32 v6, 0x3e9e377a, v44 :: v_dual_fmac_f32 v19, 0x3e9e377a, v13
	s_delay_alu instid0(VALU_DEP_3) | instskip(NEXT) | instid1(VALU_DEP_3)
	v_dual_add_f32 v8, v20, v18 :: v_dual_fmac_f32 v37, 0x3e9e377a, v23
	v_fmac_f32_e32 v33, 0x3e9e377a, v34
	s_delay_alu instid0(VALU_DEP_3) | instskip(NEXT) | instid1(VALU_DEP_4)
	v_fma_f32 v23, 0xbf737871, v16, -v6
	v_dual_add_f32 v6, v36, v14 :: v_dual_add_f32 v7, v38, v19
	s_delay_alu instid0(VALU_DEP_3)
	v_dual_sub_f32 v14, v36, v14 :: v_dual_mul_f32 v9, 0x3f4f1bbd, v33
	v_fma_f32 v21, 0x3f167918, v33, -v5
	v_add_f32_e32 v5, v37, v15
	v_sub_f32_e32 v13, v37, v15
	v_sub_f32_e32 v15, v38, v19
	v_fma_f32 v28, 0xbf167918, v28, -v9
	v_add_f32_e32 v9, v41, v23
	v_add_f32_e32 v10, v17, v21
	v_sub_f32_e32 v16, v20, v18
	s_delay_alu instid0(VALU_DEP_4)
	v_dual_sub_f32 v18, v17, v21 :: v_dual_add_f32 v11, v22, v28
	v_sub_f32_e32 v17, v41, v23
	v_sub_f32_e32 v19, v22, v28
	ds_store_2addr_b64 v25, v[0:1], v[4:5] offset1:13
	ds_store_2addr_b64 v25, v[6:7], v[8:9] offset0:26 offset1:39
	ds_store_2addr_b64 v25, v[10:11], v[2:3] offset0:52 offset1:65
	;; [unrolled: 1-line block ×4, first 2 shown]
	s_waitcnt lgkmcnt(0)
	s_barrier
	buffer_gl0_inv
	s_and_saveexec_b32 s0, vcc_lo
	s_cbranch_execz .LBB0_21
; %bb.20:
	v_dual_mov_b32 v25, 0 :: v_dual_add_nc_u32 v6, 13, v24
	v_lshl_add_u32 v22, v24, 3, v32
	v_add_co_u32 v26, vcc_lo, s8, v26
	s_delay_alu instid0(VALU_DEP_3)
	v_lshlrev_b64 v[4:5], 3, v[24:25]
	v_add_co_ci_u32_e32 v27, vcc_lo, s9, v27, vcc_lo
	v_dual_mov_b32 v7, v25 :: v_dual_add_nc_u32 v8, 26, v24
	ds_load_2addr_b64 v[0:3], v22 offset1:13
	v_add_co_u32 v10, vcc_lo, v26, v4
	v_dual_mov_b32 v9, v25 :: v_dual_add_nc_u32 v14, 39, v24
	v_add_co_ci_u32_e32 v11, vcc_lo, v27, v5, vcc_lo
	v_lshlrev_b64 v[12:13], 3, v[6:7]
	ds_load_2addr_b64 v[4:7], v22 offset0:26 offset1:39
	v_dual_mov_b32 v15, v25 :: v_dual_add_nc_u32 v16, 52, v24
	v_lshlrev_b64 v[8:9], 3, v[8:9]
	v_mov_b32_e32 v17, v25
	v_add_co_u32 v12, vcc_lo, v26, v12
	s_delay_alu instid0(VALU_DEP_4) | instskip(SKIP_3) | instid1(VALU_DEP_4)
	v_lshlrev_b64 v[14:15], 3, v[14:15]
	v_add_co_ci_u32_e32 v13, vcc_lo, v27, v13, vcc_lo
	v_add_co_u32 v8, vcc_lo, v26, v8
	v_add_co_ci_u32_e32 v9, vcc_lo, v27, v9, vcc_lo
	v_add_co_u32 v14, vcc_lo, v26, v14
	v_add_co_ci_u32_e32 v15, vcc_lo, v27, v15, vcc_lo
	s_waitcnt lgkmcnt(1)
	s_clause 0x1
	global_store_b64 v[10:11], v[0:1], off
	global_store_b64 v[12:13], v[2:3], off
	s_waitcnt lgkmcnt(0)
	s_clause 0x1
	global_store_b64 v[8:9], v[4:5], off
	global_store_b64 v[14:15], v[6:7], off
	v_dual_mov_b32 v5, v25 :: v_dual_add_nc_u32 v4, 0x41, v24
	v_add_nc_u32_e32 v6, 0x4e, v24
	v_lshlrev_b64 v[16:17], 3, v[16:17]
	v_dual_mov_b32 v7, v25 :: v_dual_add_nc_u32 v8, 0x5b, v24
	s_delay_alu instid0(VALU_DEP_4) | instskip(SKIP_1) | instid1(VALU_DEP_4)
	v_lshlrev_b64 v[4:5], 3, v[4:5]
	v_dual_mov_b32 v9, v25 :: v_dual_add_nc_u32 v18, 0x68, v24
	v_add_co_u32 v12, vcc_lo, v26, v16
	s_delay_alu instid0(VALU_DEP_4)
	v_lshlrev_b64 v[10:11], 3, v[6:7]
	v_add_co_ci_u32_e32 v13, vcc_lo, v27, v17, vcc_lo
	v_add_co_u32 v14, vcc_lo, v26, v4
	ds_load_2addr_b64 v[0:3], v22 offset0:52 offset1:65
	v_add_co_ci_u32_e32 v15, vcc_lo, v27, v5, vcc_lo
	ds_load_2addr_b64 v[4:7], v22 offset0:78 offset1:91
	v_add_co_u32 v20, vcc_lo, v26, v10
	v_lshlrev_b64 v[16:17], 3, v[8:9]
	v_dual_mov_b32 v19, v25 :: v_dual_add_nc_u32 v24, 0x75, v24
	v_add_co_ci_u32_e32 v21, vcc_lo, v27, v11, vcc_lo
	ds_load_2addr_b64 v[8:11], v22 offset0:104 offset1:117
	v_lshlrev_b64 v[18:19], 3, v[18:19]
	v_add_co_u32 v16, vcc_lo, v26, v16
	v_lshlrev_b64 v[22:23], 3, v[24:25]
	v_add_co_ci_u32_e32 v17, vcc_lo, v27, v17, vcc_lo
	s_delay_alu instid0(VALU_DEP_4) | instskip(SKIP_1) | instid1(VALU_DEP_4)
	v_add_co_u32 v18, vcc_lo, v26, v18
	v_add_co_ci_u32_e32 v19, vcc_lo, v27, v19, vcc_lo
	v_add_co_u32 v22, vcc_lo, v26, v22
	v_add_co_ci_u32_e32 v23, vcc_lo, v27, v23, vcc_lo
	s_waitcnt lgkmcnt(2)
	s_clause 0x1
	global_store_b64 v[12:13], v[0:1], off
	global_store_b64 v[14:15], v[2:3], off
	s_waitcnt lgkmcnt(1)
	s_clause 0x1
	global_store_b64 v[20:21], v[4:5], off
	global_store_b64 v[16:17], v[6:7], off
	;; [unrolled: 4-line block ×3, first 2 shown]
.LBB0_21:
	s_nop 0
	s_sendmsg sendmsg(MSG_DEALLOC_VGPRS)
	s_endpgm
	.section	.rodata,"a",@progbits
	.p2align	6, 0x0
	.amdhsa_kernel fft_rtc_fwd_len130_factors_13_10_wgs_52_tpt_13_sp_ip_CI_unitstride_sbrr_C2R_dirReg
		.amdhsa_group_segment_fixed_size 0
		.amdhsa_private_segment_fixed_size 0
		.amdhsa_kernarg_size 88
		.amdhsa_user_sgpr_count 15
		.amdhsa_user_sgpr_dispatch_ptr 0
		.amdhsa_user_sgpr_queue_ptr 0
		.amdhsa_user_sgpr_kernarg_segment_ptr 1
		.amdhsa_user_sgpr_dispatch_id 0
		.amdhsa_user_sgpr_private_segment_size 0
		.amdhsa_wavefront_size32 1
		.amdhsa_uses_dynamic_stack 0
		.amdhsa_enable_private_segment 0
		.amdhsa_system_sgpr_workgroup_id_x 1
		.amdhsa_system_sgpr_workgroup_id_y 0
		.amdhsa_system_sgpr_workgroup_id_z 0
		.amdhsa_system_sgpr_workgroup_info 0
		.amdhsa_system_vgpr_workitem_id 0
		.amdhsa_next_free_vgpr 111
		.amdhsa_next_free_sgpr 21
		.amdhsa_reserve_vcc 1
		.amdhsa_float_round_mode_32 0
		.amdhsa_float_round_mode_16_64 0
		.amdhsa_float_denorm_mode_32 3
		.amdhsa_float_denorm_mode_16_64 3
		.amdhsa_dx10_clamp 1
		.amdhsa_ieee_mode 1
		.amdhsa_fp16_overflow 0
		.amdhsa_workgroup_processor_mode 1
		.amdhsa_memory_ordered 1
		.amdhsa_forward_progress 0
		.amdhsa_shared_vgpr_count 0
		.amdhsa_exception_fp_ieee_invalid_op 0
		.amdhsa_exception_fp_denorm_src 0
		.amdhsa_exception_fp_ieee_div_zero 0
		.amdhsa_exception_fp_ieee_overflow 0
		.amdhsa_exception_fp_ieee_underflow 0
		.amdhsa_exception_fp_ieee_inexact 0
		.amdhsa_exception_int_div_zero 0
	.end_amdhsa_kernel
	.text
.Lfunc_end0:
	.size	fft_rtc_fwd_len130_factors_13_10_wgs_52_tpt_13_sp_ip_CI_unitstride_sbrr_C2R_dirReg, .Lfunc_end0-fft_rtc_fwd_len130_factors_13_10_wgs_52_tpt_13_sp_ip_CI_unitstride_sbrr_C2R_dirReg
                                        ; -- End function
	.section	.AMDGPU.csdata,"",@progbits
; Kernel info:
; codeLenInByte = 7500
; NumSgprs: 23
; NumVgprs: 111
; ScratchSize: 0
; MemoryBound: 0
; FloatMode: 240
; IeeeMode: 1
; LDSByteSize: 0 bytes/workgroup (compile time only)
; SGPRBlocks: 2
; VGPRBlocks: 13
; NumSGPRsForWavesPerEU: 23
; NumVGPRsForWavesPerEU: 111
; Occupancy: 12
; WaveLimiterHint : 1
; COMPUTE_PGM_RSRC2:SCRATCH_EN: 0
; COMPUTE_PGM_RSRC2:USER_SGPR: 15
; COMPUTE_PGM_RSRC2:TRAP_HANDLER: 0
; COMPUTE_PGM_RSRC2:TGID_X_EN: 1
; COMPUTE_PGM_RSRC2:TGID_Y_EN: 0
; COMPUTE_PGM_RSRC2:TGID_Z_EN: 0
; COMPUTE_PGM_RSRC2:TIDIG_COMP_CNT: 0
	.text
	.p2alignl 7, 3214868480
	.fill 96, 4, 3214868480
	.type	__hip_cuid_50b9f0352cd22e18,@object ; @__hip_cuid_50b9f0352cd22e18
	.section	.bss,"aw",@nobits
	.globl	__hip_cuid_50b9f0352cd22e18
__hip_cuid_50b9f0352cd22e18:
	.byte	0                               ; 0x0
	.size	__hip_cuid_50b9f0352cd22e18, 1

	.ident	"AMD clang version 19.0.0git (https://github.com/RadeonOpenCompute/llvm-project roc-6.4.0 25133 c7fe45cf4b819c5991fe208aaa96edf142730f1d)"
	.section	".note.GNU-stack","",@progbits
	.addrsig
	.addrsig_sym __hip_cuid_50b9f0352cd22e18
	.amdgpu_metadata
---
amdhsa.kernels:
  - .args:
      - .actual_access:  read_only
        .address_space:  global
        .offset:         0
        .size:           8
        .value_kind:     global_buffer
      - .offset:         8
        .size:           8
        .value_kind:     by_value
      - .actual_access:  read_only
        .address_space:  global
        .offset:         16
        .size:           8
        .value_kind:     global_buffer
      - .actual_access:  read_only
        .address_space:  global
        .offset:         24
        .size:           8
        .value_kind:     global_buffer
      - .offset:         32
        .size:           8
        .value_kind:     by_value
      - .actual_access:  read_only
        .address_space:  global
        .offset:         40
        .size:           8
        .value_kind:     global_buffer
      - .actual_access:  read_only
        .address_space:  global
        .offset:         48
        .size:           8
        .value_kind:     global_buffer
      - .offset:         56
        .size:           4
        .value_kind:     by_value
      - .actual_access:  read_only
        .address_space:  global
        .offset:         64
        .size:           8
        .value_kind:     global_buffer
      - .actual_access:  read_only
        .address_space:  global
        .offset:         72
        .size:           8
        .value_kind:     global_buffer
      - .address_space:  global
        .offset:         80
        .size:           8
        .value_kind:     global_buffer
    .group_segment_fixed_size: 0
    .kernarg_segment_align: 8
    .kernarg_segment_size: 88
    .language:       OpenCL C
    .language_version:
      - 2
      - 0
    .max_flat_workgroup_size: 52
    .name:           fft_rtc_fwd_len130_factors_13_10_wgs_52_tpt_13_sp_ip_CI_unitstride_sbrr_C2R_dirReg
    .private_segment_fixed_size: 0
    .sgpr_count:     23
    .sgpr_spill_count: 0
    .symbol:         fft_rtc_fwd_len130_factors_13_10_wgs_52_tpt_13_sp_ip_CI_unitstride_sbrr_C2R_dirReg.kd
    .uniform_work_group_size: 1
    .uses_dynamic_stack: false
    .vgpr_count:     111
    .vgpr_spill_count: 0
    .wavefront_size: 32
    .workgroup_processor_mode: 1
amdhsa.target:   amdgcn-amd-amdhsa--gfx1100
amdhsa.version:
  - 1
  - 2
...

	.end_amdgpu_metadata
